;; amdgpu-corpus repo=ROCm/rocFFT kind=compiled arch=gfx1201 opt=O3
	.text
	.amdgcn_target "amdgcn-amd-amdhsa--gfx1201"
	.amdhsa_code_object_version 6
	.protected	fft_rtc_fwd_len3072_factors_6_4_4_4_4_2_wgs_256_tpt_256_halfLds_dp_ip_CI_unitstride_sbrr_dirReg ; -- Begin function fft_rtc_fwd_len3072_factors_6_4_4_4_4_2_wgs_256_tpt_256_halfLds_dp_ip_CI_unitstride_sbrr_dirReg
	.globl	fft_rtc_fwd_len3072_factors_6_4_4_4_4_2_wgs_256_tpt_256_halfLds_dp_ip_CI_unitstride_sbrr_dirReg
	.p2align	8
	.type	fft_rtc_fwd_len3072_factors_6_4_4_4_4_2_wgs_256_tpt_256_halfLds_dp_ip_CI_unitstride_sbrr_dirReg,@function
fft_rtc_fwd_len3072_factors_6_4_4_4_4_2_wgs_256_tpt_256_halfLds_dp_ip_CI_unitstride_sbrr_dirReg: ; @fft_rtc_fwd_len3072_factors_6_4_4_4_4_2_wgs_256_tpt_256_halfLds_dp_ip_CI_unitstride_sbrr_dirReg
; %bb.0:
	s_clause 0x2
	s_load_b128 s[4:7], s[0:1], 0x0
	s_load_b64 s[8:9], s[0:1], 0x50
	s_load_b64 s[10:11], s[0:1], 0x18
	v_mov_b32_e32 v3, 0
	v_mov_b32_e32 v1, 0
	v_dual_mov_b32 v2, 0 :: v_dual_mov_b32 v5, ttmp9
	s_mov_b32 s3, 0
	s_delay_alu instid0(VALU_DEP_3) | instskip(SKIP_2) | instid1(VALU_DEP_1)
	v_mov_b32_e32 v6, v3
	s_wait_kmcnt 0x0
	v_cmp_lt_u64_e64 s2, s[6:7], 2
	s_and_b32 vcc_lo, exec_lo, s2
	s_cbranch_vccnz .LBB0_8
; %bb.1:
	s_load_b64 s[14:15], s[0:1], 0x10
	v_mov_b32_e32 v1, 0
	v_mov_b32_e32 v2, 0
	s_add_nc_u64 s[12:13], s[10:11], 8
	s_mov_b64 s[16:17], 1
	s_wait_kmcnt 0x0
	s_add_nc_u64 s[14:15], s[14:15], 8
.LBB0_2:                                ; =>This Inner Loop Header: Depth=1
	s_load_b64 s[18:19], s[14:15], 0x0
                                        ; implicit-def: $vgpr7_vgpr8
	s_mov_b32 s2, exec_lo
	s_wait_kmcnt 0x0
	v_or_b32_e32 v4, s19, v6
	s_delay_alu instid0(VALU_DEP_1)
	v_cmpx_ne_u64_e32 0, v[3:4]
	s_wait_alu 0xfffe
	s_xor_b32 s20, exec_lo, s2
	s_cbranch_execz .LBB0_4
; %bb.3:                                ;   in Loop: Header=BB0_2 Depth=1
	s_cvt_f32_u32 s2, s18
	s_cvt_f32_u32 s21, s19
	s_sub_nc_u64 s[24:25], 0, s[18:19]
	s_wait_alu 0xfffe
	s_delay_alu instid0(SALU_CYCLE_1) | instskip(SKIP_1) | instid1(SALU_CYCLE_2)
	s_fmamk_f32 s2, s21, 0x4f800000, s2
	s_wait_alu 0xfffe
	v_s_rcp_f32 s2, s2
	s_delay_alu instid0(TRANS32_DEP_1) | instskip(SKIP_1) | instid1(SALU_CYCLE_2)
	s_mul_f32 s2, s2, 0x5f7ffffc
	s_wait_alu 0xfffe
	s_mul_f32 s21, s2, 0x2f800000
	s_wait_alu 0xfffe
	s_delay_alu instid0(SALU_CYCLE_2) | instskip(SKIP_1) | instid1(SALU_CYCLE_2)
	s_trunc_f32 s21, s21
	s_wait_alu 0xfffe
	s_fmamk_f32 s2, s21, 0xcf800000, s2
	s_cvt_u32_f32 s23, s21
	s_wait_alu 0xfffe
	s_delay_alu instid0(SALU_CYCLE_1) | instskip(SKIP_1) | instid1(SALU_CYCLE_2)
	s_cvt_u32_f32 s22, s2
	s_wait_alu 0xfffe
	s_mul_u64 s[26:27], s[24:25], s[22:23]
	s_wait_alu 0xfffe
	s_mul_hi_u32 s29, s22, s27
	s_mul_i32 s28, s22, s27
	s_mul_hi_u32 s2, s22, s26
	s_mul_i32 s30, s23, s26
	s_wait_alu 0xfffe
	s_add_nc_u64 s[28:29], s[2:3], s[28:29]
	s_mul_hi_u32 s21, s23, s26
	s_mul_hi_u32 s31, s23, s27
	s_add_co_u32 s2, s28, s30
	s_wait_alu 0xfffe
	s_add_co_ci_u32 s2, s29, s21
	s_mul_i32 s26, s23, s27
	s_add_co_ci_u32 s27, s31, 0
	s_wait_alu 0xfffe
	s_add_nc_u64 s[26:27], s[2:3], s[26:27]
	s_wait_alu 0xfffe
	v_add_co_u32 v4, s2, s22, s26
	s_delay_alu instid0(VALU_DEP_1) | instskip(SKIP_1) | instid1(VALU_DEP_1)
	s_cmp_lg_u32 s2, 0
	s_add_co_ci_u32 s23, s23, s27
	v_readfirstlane_b32 s22, v4
	s_wait_alu 0xfffe
	s_delay_alu instid0(VALU_DEP_1)
	s_mul_u64 s[24:25], s[24:25], s[22:23]
	s_wait_alu 0xfffe
	s_mul_hi_u32 s27, s22, s25
	s_mul_i32 s26, s22, s25
	s_mul_hi_u32 s2, s22, s24
	s_mul_i32 s28, s23, s24
	s_wait_alu 0xfffe
	s_add_nc_u64 s[26:27], s[2:3], s[26:27]
	s_mul_hi_u32 s21, s23, s24
	s_mul_hi_u32 s22, s23, s25
	s_wait_alu 0xfffe
	s_add_co_u32 s2, s26, s28
	s_add_co_ci_u32 s2, s27, s21
	s_mul_i32 s24, s23, s25
	s_add_co_ci_u32 s25, s22, 0
	s_wait_alu 0xfffe
	s_add_nc_u64 s[24:25], s[2:3], s[24:25]
	s_wait_alu 0xfffe
	v_add_co_u32 v4, s2, v4, s24
	s_delay_alu instid0(VALU_DEP_1) | instskip(SKIP_1) | instid1(VALU_DEP_1)
	s_cmp_lg_u32 s2, 0
	s_add_co_ci_u32 s2, s23, s25
	v_mul_hi_u32 v13, v5, v4
	s_wait_alu 0xfffe
	v_mad_co_u64_u32 v[7:8], null, v5, s2, 0
	v_mad_co_u64_u32 v[9:10], null, v6, v4, 0
	;; [unrolled: 1-line block ×3, first 2 shown]
	s_delay_alu instid0(VALU_DEP_3) | instskip(SKIP_1) | instid1(VALU_DEP_4)
	v_add_co_u32 v4, vcc_lo, v13, v7
	s_wait_alu 0xfffd
	v_add_co_ci_u32_e32 v7, vcc_lo, 0, v8, vcc_lo
	s_delay_alu instid0(VALU_DEP_2) | instskip(SKIP_1) | instid1(VALU_DEP_2)
	v_add_co_u32 v4, vcc_lo, v4, v9
	s_wait_alu 0xfffd
	v_add_co_ci_u32_e32 v4, vcc_lo, v7, v10, vcc_lo
	s_wait_alu 0xfffd
	v_add_co_ci_u32_e32 v7, vcc_lo, 0, v12, vcc_lo
	s_delay_alu instid0(VALU_DEP_2) | instskip(SKIP_1) | instid1(VALU_DEP_2)
	v_add_co_u32 v4, vcc_lo, v4, v11
	s_wait_alu 0xfffd
	v_add_co_ci_u32_e32 v9, vcc_lo, 0, v7, vcc_lo
	s_delay_alu instid0(VALU_DEP_2) | instskip(SKIP_1) | instid1(VALU_DEP_3)
	v_mul_lo_u32 v10, s19, v4
	v_mad_co_u64_u32 v[7:8], null, s18, v4, 0
	v_mul_lo_u32 v11, s18, v9
	s_delay_alu instid0(VALU_DEP_2) | instskip(NEXT) | instid1(VALU_DEP_2)
	v_sub_co_u32 v7, vcc_lo, v5, v7
	v_add3_u32 v8, v8, v11, v10
	s_delay_alu instid0(VALU_DEP_1) | instskip(SKIP_1) | instid1(VALU_DEP_1)
	v_sub_nc_u32_e32 v10, v6, v8
	s_wait_alu 0xfffd
	v_subrev_co_ci_u32_e64 v10, s2, s19, v10, vcc_lo
	v_add_co_u32 v11, s2, v4, 2
	s_wait_alu 0xf1ff
	v_add_co_ci_u32_e64 v12, s2, 0, v9, s2
	v_sub_co_u32 v13, s2, v7, s18
	v_sub_co_ci_u32_e32 v8, vcc_lo, v6, v8, vcc_lo
	s_wait_alu 0xf1ff
	v_subrev_co_ci_u32_e64 v10, s2, 0, v10, s2
	s_delay_alu instid0(VALU_DEP_3) | instskip(NEXT) | instid1(VALU_DEP_3)
	v_cmp_le_u32_e32 vcc_lo, s18, v13
	v_cmp_eq_u32_e64 s2, s19, v8
	s_wait_alu 0xfffd
	v_cndmask_b32_e64 v13, 0, -1, vcc_lo
	v_cmp_le_u32_e32 vcc_lo, s19, v10
	s_wait_alu 0xfffd
	v_cndmask_b32_e64 v14, 0, -1, vcc_lo
	v_cmp_le_u32_e32 vcc_lo, s18, v7
	;; [unrolled: 3-line block ×3, first 2 shown]
	s_wait_alu 0xfffd
	v_cndmask_b32_e64 v15, 0, -1, vcc_lo
	v_cmp_eq_u32_e32 vcc_lo, s19, v10
	s_wait_alu 0xf1ff
	s_delay_alu instid0(VALU_DEP_2)
	v_cndmask_b32_e64 v7, v15, v7, s2
	s_wait_alu 0xfffd
	v_cndmask_b32_e32 v10, v14, v13, vcc_lo
	v_add_co_u32 v13, vcc_lo, v4, 1
	s_wait_alu 0xfffd
	v_add_co_ci_u32_e32 v14, vcc_lo, 0, v9, vcc_lo
	s_delay_alu instid0(VALU_DEP_3) | instskip(SKIP_2) | instid1(VALU_DEP_3)
	v_cmp_ne_u32_e32 vcc_lo, 0, v10
	s_wait_alu 0xfffd
	v_cndmask_b32_e32 v10, v13, v11, vcc_lo
	v_cndmask_b32_e32 v8, v14, v12, vcc_lo
	v_cmp_ne_u32_e32 vcc_lo, 0, v7
	s_wait_alu 0xfffd
	s_delay_alu instid0(VALU_DEP_2)
	v_dual_cndmask_b32 v7, v4, v10 :: v_dual_cndmask_b32 v8, v9, v8
.LBB0_4:                                ;   in Loop: Header=BB0_2 Depth=1
	s_wait_alu 0xfffe
	s_and_not1_saveexec_b32 s2, s20
	s_cbranch_execz .LBB0_6
; %bb.5:                                ;   in Loop: Header=BB0_2 Depth=1
	v_cvt_f32_u32_e32 v4, s18
	s_sub_co_i32 s20, 0, s18
	s_delay_alu instid0(VALU_DEP_1) | instskip(NEXT) | instid1(TRANS32_DEP_1)
	v_rcp_iflag_f32_e32 v4, v4
	v_mul_f32_e32 v4, 0x4f7ffffe, v4
	s_delay_alu instid0(VALU_DEP_1) | instskip(SKIP_1) | instid1(VALU_DEP_1)
	v_cvt_u32_f32_e32 v4, v4
	s_wait_alu 0xfffe
	v_mul_lo_u32 v7, s20, v4
	s_delay_alu instid0(VALU_DEP_1) | instskip(NEXT) | instid1(VALU_DEP_1)
	v_mul_hi_u32 v7, v4, v7
	v_add_nc_u32_e32 v4, v4, v7
	s_delay_alu instid0(VALU_DEP_1) | instskip(NEXT) | instid1(VALU_DEP_1)
	v_mul_hi_u32 v4, v5, v4
	v_mul_lo_u32 v7, v4, s18
	v_add_nc_u32_e32 v8, 1, v4
	s_delay_alu instid0(VALU_DEP_2) | instskip(NEXT) | instid1(VALU_DEP_1)
	v_sub_nc_u32_e32 v7, v5, v7
	v_subrev_nc_u32_e32 v9, s18, v7
	v_cmp_le_u32_e32 vcc_lo, s18, v7
	s_wait_alu 0xfffd
	s_delay_alu instid0(VALU_DEP_2) | instskip(NEXT) | instid1(VALU_DEP_1)
	v_dual_cndmask_b32 v7, v7, v9 :: v_dual_cndmask_b32 v4, v4, v8
	v_cmp_le_u32_e32 vcc_lo, s18, v7
	s_delay_alu instid0(VALU_DEP_2) | instskip(SKIP_1) | instid1(VALU_DEP_1)
	v_add_nc_u32_e32 v8, 1, v4
	s_wait_alu 0xfffd
	v_dual_cndmask_b32 v7, v4, v8 :: v_dual_mov_b32 v8, v3
.LBB0_6:                                ;   in Loop: Header=BB0_2 Depth=1
	s_wait_alu 0xfffe
	s_or_b32 exec_lo, exec_lo, s2
	s_load_b64 s[20:21], s[12:13], 0x0
	s_delay_alu instid0(VALU_DEP_1)
	v_mul_lo_u32 v4, v8, s18
	v_mul_lo_u32 v11, v7, s19
	v_mad_co_u64_u32 v[9:10], null, v7, s18, 0
	s_add_nc_u64 s[16:17], s[16:17], 1
	s_add_nc_u64 s[12:13], s[12:13], 8
	s_wait_alu 0xfffe
	v_cmp_ge_u64_e64 s2, s[16:17], s[6:7]
	s_add_nc_u64 s[14:15], s[14:15], 8
	s_delay_alu instid0(VALU_DEP_2) | instskip(NEXT) | instid1(VALU_DEP_3)
	v_add3_u32 v4, v10, v11, v4
	v_sub_co_u32 v5, vcc_lo, v5, v9
	s_wait_alu 0xfffd
	s_delay_alu instid0(VALU_DEP_2) | instskip(SKIP_3) | instid1(VALU_DEP_2)
	v_sub_co_ci_u32_e32 v4, vcc_lo, v6, v4, vcc_lo
	s_and_b32 vcc_lo, exec_lo, s2
	s_wait_kmcnt 0x0
	v_mul_lo_u32 v6, s21, v5
	v_mul_lo_u32 v4, s20, v4
	v_mad_co_u64_u32 v[1:2], null, s20, v5, v[1:2]
	s_delay_alu instid0(VALU_DEP_1)
	v_add3_u32 v2, v6, v2, v4
	s_wait_alu 0xfffe
	s_cbranch_vccnz .LBB0_9
; %bb.7:                                ;   in Loop: Header=BB0_2 Depth=1
	v_dual_mov_b32 v5, v7 :: v_dual_mov_b32 v6, v8
	s_branch .LBB0_2
.LBB0_8:
	v_dual_mov_b32 v8, v6 :: v_dual_mov_b32 v7, v5
.LBB0_9:
	s_lshl_b64 s[2:3], s[6:7], 3
	v_or_b32_e32 v49, 0x100, v0
	s_wait_alu 0xfffe
	s_add_nc_u64 s[2:3], s[10:11], s[2:3]
	v_or_b32_e32 v54, 0x300, v0
	s_load_b64 s[2:3], s[2:3], 0x0
	s_load_b64 s[0:1], s[0:1], 0x20
	v_or_b32_e32 v53, 0x200, v0
	v_or_b32_e32 v57, 0x400, v0
	;; [unrolled: 1-line block ×3, first 2 shown]
	s_wait_kmcnt 0x0
	v_mul_lo_u32 v3, s2, v8
	v_mul_lo_u32 v4, s3, v7
	v_mad_co_u64_u32 v[1:2], null, s2, v7, v[1:2]
	v_cmp_gt_u64_e32 vcc_lo, s[0:1], v[7:8]
	v_cmp_le_u64_e64 s0, s[0:1], v[7:8]
	s_delay_alu instid0(VALU_DEP_3) | instskip(NEXT) | instid1(VALU_DEP_2)
	v_add3_u32 v2, v4, v2, v3
	s_and_saveexec_b32 s1, s0
	s_wait_alu 0xfffe
	s_xor_b32 s0, exec_lo, s1
; %bb.10:
	v_or_b32_e32 v49, 0x100, v0
	v_or_b32_e32 v54, 0x300, v0
	;; [unrolled: 1-line block ×5, first 2 shown]
; %bb.11:
	s_wait_alu 0xfffe
	s_or_saveexec_b32 s1, s0
	v_lshlrev_b64_e32 v[51:52], 4, v[1:2]
	v_lshlrev_b32_e32 v59, 4, v0
                                        ; implicit-def: $vgpr31_vgpr32
                                        ; implicit-def: $vgpr19_vgpr20
                                        ; implicit-def: $vgpr3_vgpr4
                                        ; implicit-def: $vgpr23_vgpr24
                                        ; implicit-def: $vgpr43_vgpr44
                                        ; implicit-def: $vgpr7_vgpr8
                                        ; implicit-def: $vgpr11_vgpr12
                                        ; implicit-def: $vgpr39_vgpr40
                                        ; implicit-def: $vgpr35_vgpr36
                                        ; implicit-def: $vgpr15_vgpr16
                                        ; implicit-def: $vgpr47_vgpr48
                                        ; implicit-def: $vgpr27_vgpr28
	s_wait_alu 0xfffe
	s_xor_b32 exec_lo, exec_lo, s1
	s_cbranch_execz .LBB0_13
; %bb.12:
	s_delay_alu instid0(VALU_DEP_2) | instskip(SKIP_3) | instid1(VALU_DEP_3)
	v_add_co_u32 v11, s0, s8, v51
	s_wait_alu 0xf1ff
	v_add_co_ci_u32_e64 v12, s0, s9, v52, s0
	v_lshlrev_b32_e32 v1, 4, v54
	v_add_co_u32 v5, s0, v11, v59
	s_wait_alu 0xf1ff
	s_delay_alu instid0(VALU_DEP_3) | instskip(NEXT) | instid1(VALU_DEP_3)
	v_add_co_ci_u32_e64 v6, s0, 0, v12, s0
	v_add_co_u32 v7, s0, v11, v1
	s_wait_alu 0xf1ff
	v_add_co_ci_u32_e64 v8, s0, 0, v12, s0
	v_or_b32_e32 v9, 0x7000, v59
	s_clause 0x5
	global_load_b128 v[29:32], v[5:6], off offset:8192
	global_load_b128 v[17:20], v[5:6], off offset:16384
	global_load_b128 v[25:28], v[5:6], off
	global_load_b128 v[21:24], v[5:6], off offset:4096
	global_load_b128 v[1:4], v[5:6], off offset:40960
	global_load_b128 v[33:36], v[7:8], off
	v_or_b32_e32 v7, 0xb000, v59
	v_add_co_u32 v9, s0, v11, v9
	s_wait_alu 0xf1ff
	v_add_co_ci_u32_e64 v10, s0, 0, v12, s0
	s_delay_alu instid0(VALU_DEP_3)
	v_add_co_u32 v11, s0, v11, v7
	s_wait_alu 0xf1ff
	v_add_co_ci_u32_e64 v12, s0, 0, v12, s0
	s_clause 0x5
	global_load_b128 v[45:48], v[5:6], off offset:24576
	global_load_b128 v[37:40], v[5:6], off offset:20480
	;; [unrolled: 1-line block ×4, first 2 shown]
	global_load_b128 v[41:44], v[9:10], off
	global_load_b128 v[9:12], v[11:12], off
.LBB0_13:
	s_or_b32 exec_lo, exec_lo, s1
	s_wait_loadcnt 0x5
	v_add_f64_e32 v[60:61], v[1:2], v[45:46]
	s_wait_loadcnt 0x0
	v_add_f64_e32 v[62:63], v[41:42], v[9:10]
	v_add_f64_e32 v[64:65], v[3:4], v[47:48]
	;; [unrolled: 1-line block ×3, first 2 shown]
	v_add_f64_e64 v[68:69], v[47:48], -v[3:4]
	v_add_f64_e64 v[70:71], v[43:44], -v[11:12]
	;; [unrolled: 1-line block ×4, first 2 shown]
	s_mov_b32 s2, 0xe8584caa
	s_mov_b32 s3, 0x3febb67a
	;; [unrolled: 1-line block ×3, first 2 shown]
	s_wait_alu 0xfffe
	s_mov_b32 s0, s2
	v_add_f64_e32 v[76:77], v[17:18], v[13:14]
	v_add_f64_e32 v[84:85], v[7:8], v[39:40]
	;; [unrolled: 1-line block ×3, first 2 shown]
	v_add_f64_e64 v[17:18], v[17:18], -v[13:14]
	v_fma_f64 v[60:61], v[60:61], -0.5, v[29:30]
	v_fma_f64 v[62:63], v[62:63], -0.5, v[33:34]
	;; [unrolled: 1-line block ×4, first 2 shown]
	v_add_f64_e32 v[29:30], v[29:30], v[45:46]
	v_add_f64_e32 v[31:32], v[31:32], v[47:48]
	v_add_f64_e64 v[45:46], v[19:20], -v[15:16]
	v_add_f64_e32 v[47:48], v[21:22], v[37:38]
	v_add_f64_e32 v[33:34], v[41:42], v[33:34]
	;; [unrolled: 1-line block ×3, first 2 shown]
	v_add_f64_e64 v[41:42], v[39:40], -v[7:8]
	v_fma_f64 v[25:26], v[76:77], -0.5, v[25:26]
	v_add_f64_e32 v[13:14], v[13:14], v[88:89]
	v_fma_f64 v[78:79], v[68:69], s[2:3], v[60:61]
	s_wait_alu 0xfffe
	v_fma_f64 v[60:61], v[68:69], s[0:1], v[60:61]
	v_add_f64_e32 v[68:69], v[5:6], v[37:38]
	v_fma_f64 v[80:81], v[70:71], s[2:3], v[62:63]
	v_fma_f64 v[62:63], v[70:71], s[0:1], v[62:63]
	v_add_f64_e32 v[70:71], v[19:20], v[15:16]
	v_fma_f64 v[82:83], v[72:73], s[2:3], v[64:65]
	v_fma_f64 v[86:87], v[74:75], s[2:3], v[66:67]
	;; [unrolled: 1-line block ×4, first 2 shown]
	v_add_f64_e32 v[19:20], v[19:20], v[27:28]
	v_add_f64_e64 v[37:38], v[37:38], -v[5:6]
	v_add_f64_e32 v[29:30], v[1:2], v[29:30]
	v_add_f64_e32 v[5:6], v[5:6], v[47:48]
	;; [unrolled: 1-line block ×3, first 2 shown]
	v_fma_f64 v[47:48], v[45:46], s[2:3], v[25:26]
	v_fma_f64 v[25:26], v[45:46], s[0:1], v[25:26]
	v_add_f64_e32 v[35:36], v[11:12], v[35:36]
	v_mul_lo_u16 v1, 0xab, v0
	v_mul_f64_e32 v[64:65], 0.5, v[78:79]
	v_mul_f64_e32 v[72:73], -0.5, v[60:61]
	v_fma_f64 v[21:22], v[68:69], -0.5, v[21:22]
	v_mul_f64_e32 v[68:69], 0.5, v[80:81]
	v_mul_f64_e32 v[74:75], -0.5, v[62:63]
	v_fma_f64 v[70:71], v[70:71], -0.5, v[27:28]
	v_add_f64_e32 v[27:28], v[23:24], v[39:40]
	v_mul_f64_e32 v[39:40], s[0:1], v[78:79]
	v_mul_f64_e32 v[76:77], -0.5, v[82:83]
	v_fma_f64 v[23:24], v[84:85], -0.5, v[23:24]
	v_mul_f64_e32 v[78:79], s[0:1], v[80:81]
	v_mul_f64_e32 v[80:81], -0.5, v[86:87]
	v_add_f64_e32 v[84:85], v[3:4], v[31:32]
	v_add_f64_e32 v[2:3], v[29:30], v[13:14]
	;; [unrolled: 1-line block ×3, first 2 shown]
	v_fma_f64 v[45:46], v[43:44], s[2:3], v[64:65]
	v_fma_f64 v[64:65], v[82:83], s[2:3], v[72:73]
	;; [unrolled: 1-line block ×5, first 2 shown]
	v_add_f64_e32 v[82:83], v[15:16], v[19:20]
	v_add_f64_e32 v[27:28], v[7:8], v[27:28]
	v_fma_f64 v[86:87], v[17:18], s[0:1], v[70:71]
	v_fma_f64 v[43:44], v[43:44], 0.5, v[39:40]
	v_fma_f64 v[70:71], v[17:18], s[2:3], v[70:71]
	v_fma_f64 v[76:77], v[60:61], s[0:1], v[76:77]
	;; [unrolled: 1-line block ×4, first 2 shown]
	v_fma_f64 v[66:67], v[66:67], 0.5, v[78:79]
	v_fma_f64 v[90:91], v[37:38], s[2:3], v[23:24]
	v_fma_f64 v[78:79], v[62:63], s[0:1], v[80:81]
	v_add_f64_e64 v[18:19], v[5:6], -v[33:34]
	v_add_f64_e64 v[8:9], v[13:14], -v[29:30]
	v_lshrrev_b16 v24, 10, v1
	v_cmp_gt_u32_e64 s0, 0x180, v49
	s_delay_alu instid0(VALU_DEP_2) | instskip(SKIP_1) | instid1(VALU_DEP_2)
	v_mul_lo_u16 v15, v24, 6
	v_and_b32_e32 v24, 0xffff, v24
	v_sub_nc_u16 v14, v0, v15
	v_mul_u32_u24_e32 v15, 6, v0
	s_delay_alu instid0(VALU_DEP_3) | instskip(NEXT) | instid1(VALU_DEP_3)
	v_mul_u32_u24_e32 v24, 24, v24
	v_and_b32_e32 v14, 0xff, v14
	s_delay_alu instid0(VALU_DEP_3) | instskip(NEXT) | instid1(VALU_DEP_2)
	v_lshl_add_u32 v50, v15, 3, 0
	v_mul_u32_u24_e32 v55, 3, v14
	v_add_f64_e32 v[4:5], v[47:48], v[45:46]
	v_add_f64_e64 v[20:21], v[47:48], -v[45:46]
	v_add_f64_e32 v[6:7], v[25:26], v[64:65]
	v_add_f64_e32 v[16:17], v[41:42], v[74:75]
	v_add_f64_e64 v[31:32], v[41:42], -v[74:75]
	v_add_f64_e32 v[33:34], v[84:85], v[82:83]
	;; [unrolled: 3-line block ×3, first 2 shown]
	v_add_f64_e64 v[39:40], v[82:83], -v[84:85]
	v_add_f64_e32 v[37:38], v[70:71], v[76:77]
	v_add_f64_e64 v[22:23], v[25:26], -v[64:65]
	v_add_f64_e64 v[60:61], v[86:87], -v[43:44]
	;; [unrolled: 1-line block ×3, first 2 shown]
	v_add_f64_e32 v[12:13], v[72:73], v[68:69]
	v_add_f64_e32 v[43:44], v[88:89], v[66:67]
	;; [unrolled: 1-line block ×3, first 2 shown]
	v_add_f64_e64 v[29:30], v[72:73], -v[68:69]
	v_add_f64_e64 v[64:65], v[88:89], -v[66:67]
	;; [unrolled: 1-line block ×3, first 2 shown]
	v_mul_i32_i24_e32 v25, 6, v49
	v_mad_i32_i24 v28, 0xffffffd8, v0, v50
	v_lshlrev_b32_e32 v55, 4, v55
	v_lshl_add_u32 v26, v54, 3, 0
	v_lshl_add_u32 v27, v53, 3, 0
	;; [unrolled: 1-line block ×3, first 2 shown]
	v_or_b32_e32 v14, v24, v14
	ds_store_b128 v50, v[2:5]
	ds_store_b128 v50, v[6:9] offset:16
	ds_store_b128 v50, v[20:23] offset:32
	ds_store_b128 v25, v[10:13]
	ds_store_b128 v25, v[16:19] offset:16
	ds_store_b128 v25, v[29:32] offset:32
	v_mad_i32_i24 v15, 0xffffffd8, v49, v25
	global_wb scope:SCOPE_SE
	s_wait_dscnt 0x0
	s_barrier_signal -1
	s_barrier_wait -1
	global_inv scope:SCOPE_SE
	ds_load_2addr_stride64_b64 v[4:7], v28 offset1:16
	ds_load_2addr_stride64_b64 v[8:11], v28 offset0:20 offset1:24
	ds_load_2addr_stride64_b64 v[16:19], v28 offset0:36 offset1:40
	;; [unrolled: 1-line block ×3, first 2 shown]
	ds_load_b64 v[12:13], v15
	ds_load_b64 v[76:77], v27
	;; [unrolled: 1-line block ×3, first 2 shown]
	ds_load_b64 v[80:81], v28 offset:22528
	global_wb scope:SCOPE_SE
	s_wait_dscnt 0x0
	s_barrier_signal -1
	s_barrier_wait -1
	global_inv scope:SCOPE_SE
	ds_store_b128 v50, v[33:36]
	ds_store_b128 v50, v[37:40] offset:16
	ds_store_b128 v50, v[60:63] offset:32
	ds_store_b128 v25, v[41:44]
	ds_store_b128 v25, v[45:48] offset:16
	ds_store_b128 v25, v[64:67] offset:32
	global_wb scope:SCOPE_SE
	s_wait_dscnt 0x0
	s_barrier_signal -1
	s_barrier_wait -1
	global_inv scope:SCOPE_SE
	s_clause 0x1
	global_load_b128 v[29:32], v55, s[4:5] offset:32
	global_load_b128 v[37:40], v55, s[4:5] offset:16
	v_and_b32_e32 v2, 0xffff, v49
	v_lshl_add_u32 v14, v14, 3, 0
	s_delay_alu instid0(VALU_DEP_2) | instskip(NEXT) | instid1(VALU_DEP_1)
	v_mul_u32_u24_e32 v2, 0xaaab, v2
	v_lshrrev_b32_e32 v50, 18, v2
	s_delay_alu instid0(VALU_DEP_1) | instskip(SKIP_1) | instid1(VALU_DEP_2)
	v_mul_lo_u16 v3, v50, 6
	v_mul_lo_u16 v50, v50, 24
	v_sub_nc_u16 v58, v49, v3
	s_delay_alu instid0(VALU_DEP_1) | instskip(NEXT) | instid1(VALU_DEP_3)
	v_mul_lo_u16 v3, v58, 3
	v_or_b32_e32 v24, v50, v58
	s_delay_alu instid0(VALU_DEP_2) | instskip(NEXT) | instid1(VALU_DEP_1)
	v_and_b32_e32 v3, 0xffff, v3
	v_lshlrev_b32_e32 v68, 4, v3
	v_and_b32_e32 v3, 0xffff, v53
	global_load_b128 v[33:36], v68, s[4:5] offset:32
	v_mul_u32_u24_e32 v3, 0xaaab, v3
	s_delay_alu instid0(VALU_DEP_1) | instskip(NEXT) | instid1(VALU_DEP_1)
	v_lshrrev_b32_e32 v88, 18, v3
	v_mul_lo_u16 v41, v88, 6
	s_delay_alu instid0(VALU_DEP_1) | instskip(NEXT) | instid1(VALU_DEP_1)
	v_sub_nc_u16 v89, v53, v41
	v_mul_lo_u16 v41, v89, 3
	s_delay_alu instid0(VALU_DEP_1) | instskip(NEXT) | instid1(VALU_DEP_1)
	v_and_b32_e32 v41, 0xffff, v41
	v_lshlrev_b32_e32 v84, 4, v41
	s_clause 0x4
	global_load_b128 v[41:44], v84, s[4:5]
	global_load_b128 v[45:48], v55, s[4:5]
	;; [unrolled: 1-line block ×3, first 2 shown]
	global_load_b128 v[68:71], v68, s[4:5] offset:16
	global_load_b128 v[72:75], v84, s[4:5] offset:16
	ds_load_2addr_stride64_b64 v[64:67], v28 offset0:36 offset1:40
	v_lshrrev_b16 v55, 12, v1
	s_wait_loadcnt_dscnt 0x700
	v_mul_f64_e32 v[82:83], v[64:65], v[31:32]
	v_mul_f64_e32 v[31:32], v[16:17], v[31:32]
	s_delay_alu instid0(VALU_DEP_2) | instskip(NEXT) | instid1(VALU_DEP_2)
	v_fma_f64 v[82:83], v[16:17], v[29:30], -v[82:83]
	v_fma_f64 v[64:65], v[64:65], v[29:30], v[31:32]
	global_load_b128 v[29:32], v84, s[4:5] offset:32
	s_wait_loadcnt 0x6
	v_mul_f64_e32 v[16:17], v[66:67], v[35:36]
	s_delay_alu instid0(VALU_DEP_1) | instskip(SKIP_1) | instid1(VALU_DEP_1)
	v_fma_f64 v[84:85], v[18:19], v[33:34], -v[16:17]
	v_mul_f64_e32 v[16:17], v[18:19], v[35:36]
	v_fma_f64 v[33:34], v[66:67], v[33:34], v[16:17]
	ds_load_2addr_stride64_b64 v[16:19], v28 offset0:20 offset1:24
	s_wait_dscnt 0x0
	v_mul_f64_e32 v[35:36], v[18:19], v[39:40]
	v_mul_f64_e32 v[39:40], v[10:11], v[39:40]
	s_wait_loadcnt 0x5
	v_mul_f64_e32 v[66:67], v[16:17], v[43:44]
	s_delay_alu instid0(VALU_DEP_3) | instskip(SKIP_1) | instid1(VALU_DEP_4)
	v_fma_f64 v[35:36], v[10:11], v[37:38], -v[35:36]
	v_mul_f64_e32 v[10:11], v[8:9], v[43:44]
	v_fma_f64 v[37:38], v[18:19], v[37:38], v[39:40]
	ds_load_b64 v[18:19], v26
	v_fma_f64 v[39:40], v[8:9], v[41:42], -v[66:67]
	ds_load_b64 v[43:44], v27
	ds_load_b64 v[66:67], v28 offset:22528
	v_fma_f64 v[41:42], v[16:17], v[41:42], v[10:11]
	s_wait_loadcnt_dscnt 0x402
	v_mul_f64_e32 v[16:17], v[18:19], v[47:48]
	v_mul_f64_e32 v[47:48], v[78:79], v[47:48]
	ds_load_2addr_stride64_b64 v[8:11], v28 offset1:16
	s_wait_loadcnt_dscnt 0x300
	v_mul_f64_e32 v[86:87], v[10:11], v[62:63]
	v_add_f64_e64 v[37:38], v[8:9], -v[37:38]
	v_fma_f64 v[78:79], v[78:79], v[45:46], -v[16:17]
	v_fma_f64 v[45:46], v[18:19], v[45:46], v[47:48]
	v_mul_f64_e32 v[47:48], v[6:7], v[62:63]
	ds_load_2addr_stride64_b64 v[16:19], v28 offset0:28 offset1:32
	v_fma_f64 v[6:7], v[6:7], v[60:61], -v[86:87]
	v_fma_f64 v[8:9], v[8:9], 2.0, -v[37:38]
	v_add_f64_e64 v[64:65], v[45:46], -v[64:65]
	v_fma_f64 v[10:11], v[10:11], v[60:61], v[47:48]
	s_wait_loadcnt_dscnt 0x200
	v_mul_f64_e32 v[47:48], v[16:17], v[70:71]
	v_mul_f64_e32 v[60:61], v[20:21], v[70:71]
	v_add_f64_e64 v[62:63], v[6:7], -v[84:85]
	v_fma_f64 v[45:46], v[45:46], 2.0, -v[64:65]
	v_add_f64_e64 v[33:34], v[10:11], -v[33:34]
	v_fma_f64 v[20:21], v[20:21], v[68:69], -v[47:48]
	s_wait_loadcnt 0x1
	v_mul_f64_e32 v[47:48], v[18:19], v[74:75]
	v_fma_f64 v[16:17], v[16:17], v[68:69], v[60:61]
	v_fma_f64 v[6:7], v[6:7], 2.0, -v[62:63]
	s_wait_loadcnt 0x0
	v_mul_f64_e32 v[60:61], v[66:67], v[31:32]
	v_mul_f64_e32 v[31:32], v[80:81], v[31:32]
	v_add_f64_e64 v[45:46], v[8:9], -v[45:46]
	v_fma_f64 v[10:11], v[10:11], 2.0, -v[33:34]
	v_add_f64_e64 v[20:21], v[12:13], -v[20:21]
	v_fma_f64 v[47:48], v[22:23], v[72:73], -v[47:48]
	v_mul_f64_e32 v[22:23], v[22:23], v[74:75]
	v_fma_f64 v[60:61], v[80:81], v[29:30], -v[60:61]
	s_delay_alu instid0(VALU_DEP_4) | instskip(NEXT) | instid1(VALU_DEP_4)
	v_fma_f64 v[12:13], v[12:13], 2.0, -v[20:21]
	v_add_f64_e64 v[47:48], v[76:77], -v[47:48]
	s_delay_alu instid0(VALU_DEP_4)
	v_fma_f64 v[18:19], v[18:19], v[72:73], v[22:23]
	v_fma_f64 v[22:23], v[66:67], v[29:30], v[31:32]
	ds_load_b64 v[29:30], v15
	v_add_f64_e64 v[31:32], v[4:5], -v[35:36]
	v_add_f64_e64 v[35:36], v[78:79], -v[82:83]
	;; [unrolled: 1-line block ×3, first 2 shown]
	global_wb scope:SCOPE_SE
	s_wait_dscnt 0x0
	s_barrier_signal -1
	s_barrier_wait -1
	global_inv scope:SCOPE_SE
	v_add_f64_e64 v[16:17], v[29:30], -v[16:17]
	v_add_f64_e64 v[60:61], v[39:40], -v[60:61]
	;; [unrolled: 1-line block ×3, first 2 shown]
	v_fma_f64 v[68:69], v[76:77], 2.0, -v[47:48]
	v_add_f64_e64 v[18:19], v[43:44], -v[18:19]
	v_add_f64_e64 v[22:23], v[41:42], -v[22:23]
	v_fma_f64 v[4:5], v[4:5], 2.0, -v[31:32]
	v_fma_f64 v[66:67], v[78:79], 2.0, -v[35:36]
	v_add_f64_e64 v[64:65], v[31:32], -v[64:65]
	v_add_f64_e32 v[35:36], v[37:38], v[35:36]
	v_fma_f64 v[20:21], v[20:21], 2.0, -v[33:34]
	v_fma_f64 v[29:30], v[29:30], 2.0, -v[16:17]
	v_fma_f64 v[39:40], v[39:40], 2.0, -v[60:61]
	v_add_f64_e32 v[62:63], v[16:17], v[62:63]
	v_fma_f64 v[12:13], v[12:13], 2.0, -v[6:7]
	v_fma_f64 v[43:44], v[43:44], 2.0, -v[18:19]
	;; [unrolled: 1-line block ×3, first 2 shown]
	v_add_f64_e64 v[22:23], v[47:48], -v[22:23]
	v_add_f64_e32 v[60:61], v[18:19], v[60:61]
	v_add_f64_e64 v[66:67], v[4:5], -v[66:67]
	v_fma_f64 v[37:38], v[37:38], 2.0, -v[35:36]
	v_add_f64_e64 v[70:71], v[29:30], -v[10:11]
	v_add_f64_e64 v[39:40], v[68:69], -v[39:40]
	v_fma_f64 v[10:11], v[31:32], 2.0, -v[64:65]
	v_fma_f64 v[72:73], v[16:17], 2.0, -v[62:63]
	v_add_f64_e64 v[41:42], v[43:44], -v[41:42]
	v_fma_f64 v[31:32], v[47:48], 2.0, -v[22:23]
	v_fma_f64 v[74:75], v[18:19], 2.0, -v[60:61]
	;; [unrolled: 1-line block ×5, first 2 shown]
	v_mul_lo_u16 v68, v55, 24
	v_mul_lo_u16 v69, v88, 24
	v_and_b32_e32 v55, 0xffff, v55
	s_delay_alu instid0(VALU_DEP_3) | instskip(NEXT) | instid1(VALU_DEP_3)
	v_sub_nc_u16 v68, v0, v68
	v_or_b32_e32 v50, v69, v89
	v_lshrrev_b32_e32 v89, 20, v3
	s_delay_alu instid0(VALU_DEP_4) | instskip(NEXT) | instid1(VALU_DEP_4)
	v_mul_u32_u24_e32 v55, 0x60, v55
	v_and_b32_e32 v88, 0xff, v68
	v_fma_f64 v[68:69], v[8:9], 2.0, -v[45:46]
	v_and_b32_e32 v8, 0xffff, v24
	v_and_b32_e32 v9, 0xffff, v50
	v_fma_f64 v[43:44], v[43:44], 2.0, -v[41:42]
	v_mul_u32_u24_e32 v58, 3, v88
	s_delay_alu instid0(VALU_DEP_4) | instskip(NEXT) | instid1(VALU_DEP_2)
	v_lshl_add_u32 v50, v8, 3, 0
	v_lshlrev_b32_e32 v24, 4, v58
	v_lshl_add_u32 v58, v9, 3, 0
	ds_store_2addr_b64 v14, v[66:67], v[64:65] offset0:12 offset1:18
	ds_store_2addr_b64 v14, v[4:5], v[10:11] offset1:6
	ds_store_2addr_b64 v50, v[12:13], v[20:21] offset1:6
	ds_store_2addr_b64 v50, v[6:7], v[33:34] offset0:12 offset1:18
	ds_store_2addr_b64 v58, v[47:48], v[31:32] offset1:6
	ds_store_2addr_b64 v58, v[39:40], v[22:23] offset0:12 offset1:18
	global_wb scope:SCOPE_SE
	s_wait_dscnt 0x0
	s_barrier_signal -1
	s_barrier_wait -1
	global_inv scope:SCOPE_SE
	ds_load_2addr_stride64_b64 v[4:7], v28 offset1:16
	ds_load_2addr_stride64_b64 v[8:11], v28 offset0:20 offset1:24
	ds_load_2addr_stride64_b64 v[16:19], v28 offset0:36 offset1:40
	ds_load_2addr_stride64_b64 v[20:23], v28 offset0:28 offset1:32
	ds_load_b64 v[12:13], v15
	ds_load_b64 v[76:77], v27
	;; [unrolled: 1-line block ×3, first 2 shown]
	ds_load_b64 v[80:81], v28 offset:22528
	global_wb scope:SCOPE_SE
	s_wait_dscnt 0x0
	s_barrier_signal -1
	s_barrier_wait -1
	global_inv scope:SCOPE_SE
	ds_store_2addr_b64 v14, v[68:69], v[37:38] offset1:6
	ds_store_2addr_b64 v14, v[45:46], v[35:36] offset0:12 offset1:18
	ds_store_2addr_b64 v50, v[29:30], v[72:73] offset1:6
	ds_store_2addr_b64 v50, v[70:71], v[62:63] offset0:12 offset1:18
	;; [unrolled: 2-line block ×3, first 2 shown]
	global_wb scope:SCOPE_SE
	s_wait_dscnt 0x0
	s_barrier_signal -1
	s_barrier_wait -1
	global_inv scope:SCOPE_SE
	global_load_b128 v[29:32], v24, s[4:5] offset:320
	v_lshrrev_b32_e32 v14, 20, v2
	v_mul_lo_u16 v41, v89, 24
	s_delay_alu instid0(VALU_DEP_2) | instskip(NEXT) | instid1(VALU_DEP_2)
	v_mul_lo_u16 v33, v14, 24
	v_sub_nc_u16 v90, v53, v41
	v_mul_lo_u16 v14, 0x60, v14
	s_delay_alu instid0(VALU_DEP_3) | instskip(NEXT) | instid1(VALU_DEP_3)
	v_sub_nc_u16 v50, v49, v33
	v_mul_lo_u16 v41, v90, 3
	s_delay_alu instid0(VALU_DEP_2) | instskip(NEXT) | instid1(VALU_DEP_2)
	v_mul_lo_u16 v33, v50, 3
	v_and_b32_e32 v41, 0xffff, v41
	v_or_b32_e32 v14, v14, v50
	s_delay_alu instid0(VALU_DEP_3) | instskip(NEXT) | instid1(VALU_DEP_3)
	v_and_b32_e32 v33, 0xffff, v33
	v_lshlrev_b32_e32 v84, 4, v41
	s_delay_alu instid0(VALU_DEP_2)
	v_lshlrev_b32_e32 v58, 4, v33
	s_clause 0x6
	global_load_b128 v[33:36], v58, s[4:5] offset:320
	global_load_b128 v[37:40], v24, s[4:5] offset:304
	;; [unrolled: 1-line block ×7, first 2 shown]
	ds_load_2addr_stride64_b64 v[64:67], v28 offset0:36 offset1:40
	v_lshrrev_b16 v24, 14, v1
	v_mul_lo_u16 v58, 0x60, v89
	s_delay_alu instid0(VALU_DEP_2) | instskip(NEXT) | instid1(VALU_DEP_2)
	v_mul_lo_u16 v1, 0x60, v24
	v_or_b32_e32 v50, v58, v90
	v_lshrrev_b32_e32 v58, 22, v3
	s_delay_alu instid0(VALU_DEP_3) | instskip(NEXT) | instid1(VALU_DEP_1)
	v_sub_nc_u16 v1, v0, v1
	v_and_b32_e32 v89, 0xff, v1
	v_or_b32_e32 v1, v55, v88
	s_delay_alu instid0(VALU_DEP_2) | instskip(NEXT) | instid1(VALU_DEP_2)
	v_mul_u32_u24_e32 v55, 3, v89
	v_lshl_add_u32 v1, v1, 3, 0
	s_wait_loadcnt_dscnt 0x700
	v_mul_f64_e32 v[82:83], v[64:65], v[31:32]
	v_mul_f64_e32 v[31:32], v[16:17], v[31:32]
	s_delay_alu instid0(VALU_DEP_2) | instskip(NEXT) | instid1(VALU_DEP_2)
	v_fma_f64 v[82:83], v[16:17], v[29:30], -v[82:83]
	v_fma_f64 v[64:65], v[64:65], v[29:30], v[31:32]
	global_load_b128 v[29:32], v84, s[4:5] offset:320
	s_wait_loadcnt 0x7
	v_mul_f64_e32 v[16:17], v[66:67], v[35:36]
	s_delay_alu instid0(VALU_DEP_1) | instskip(SKIP_1) | instid1(VALU_DEP_1)
	v_fma_f64 v[84:85], v[18:19], v[33:34], -v[16:17]
	v_mul_f64_e32 v[16:17], v[18:19], v[35:36]
	v_fma_f64 v[33:34], v[66:67], v[33:34], v[16:17]
	ds_load_2addr_stride64_b64 v[16:19], v28 offset0:20 offset1:24
	s_wait_loadcnt_dscnt 0x600
	v_mul_f64_e32 v[35:36], v[18:19], v[39:40]
	v_mul_f64_e32 v[39:40], v[10:11], v[39:40]
	s_wait_loadcnt 0x5
	v_mul_f64_e32 v[66:67], v[16:17], v[43:44]
	s_delay_alu instid0(VALU_DEP_3) | instskip(SKIP_1) | instid1(VALU_DEP_4)
	v_fma_f64 v[35:36], v[10:11], v[37:38], -v[35:36]
	v_mul_f64_e32 v[10:11], v[8:9], v[43:44]
	v_fma_f64 v[37:38], v[18:19], v[37:38], v[39:40]
	ds_load_b64 v[18:19], v26
	v_fma_f64 v[39:40], v[8:9], v[41:42], -v[66:67]
	ds_load_b64 v[43:44], v27
	ds_load_b64 v[66:67], v28 offset:22528
	v_fma_f64 v[41:42], v[16:17], v[41:42], v[10:11]
	s_wait_loadcnt_dscnt 0x402
	v_mul_f64_e32 v[16:17], v[18:19], v[47:48]
	v_mul_f64_e32 v[47:48], v[78:79], v[47:48]
	ds_load_2addr_stride64_b64 v[8:11], v28 offset1:16
	s_wait_loadcnt_dscnt 0x300
	v_mul_f64_e32 v[86:87], v[10:11], v[62:63]
	v_add_f64_e64 v[37:38], v[8:9], -v[37:38]
	v_fma_f64 v[78:79], v[78:79], v[45:46], -v[16:17]
	v_fma_f64 v[45:46], v[18:19], v[45:46], v[47:48]
	v_mul_f64_e32 v[47:48], v[6:7], v[62:63]
	ds_load_2addr_stride64_b64 v[16:19], v28 offset0:28 offset1:32
	v_fma_f64 v[6:7], v[6:7], v[60:61], -v[86:87]
	v_fma_f64 v[8:9], v[8:9], 2.0, -v[37:38]
	v_add_f64_e64 v[64:65], v[45:46], -v[64:65]
	v_fma_f64 v[10:11], v[10:11], v[60:61], v[47:48]
	s_wait_loadcnt_dscnt 0x200
	v_mul_f64_e32 v[47:48], v[16:17], v[70:71]
	v_mul_f64_e32 v[60:61], v[20:21], v[70:71]
	v_add_f64_e64 v[62:63], v[6:7], -v[84:85]
	v_fma_f64 v[45:46], v[45:46], 2.0, -v[64:65]
	v_add_f64_e64 v[33:34], v[10:11], -v[33:34]
	v_fma_f64 v[20:21], v[20:21], v[68:69], -v[47:48]
	s_wait_loadcnt 0x1
	v_mul_f64_e32 v[47:48], v[18:19], v[74:75]
	v_fma_f64 v[16:17], v[16:17], v[68:69], v[60:61]
	v_fma_f64 v[6:7], v[6:7], 2.0, -v[62:63]
	s_wait_loadcnt 0x0
	v_mul_f64_e32 v[60:61], v[66:67], v[31:32]
	v_mul_f64_e32 v[31:32], v[80:81], v[31:32]
	v_add_f64_e64 v[45:46], v[8:9], -v[45:46]
	v_fma_f64 v[10:11], v[10:11], 2.0, -v[33:34]
	v_add_f64_e64 v[20:21], v[12:13], -v[20:21]
	v_fma_f64 v[47:48], v[22:23], v[72:73], -v[47:48]
	v_mul_f64_e32 v[22:23], v[22:23], v[74:75]
	v_fma_f64 v[60:61], v[80:81], v[29:30], -v[60:61]
	s_delay_alu instid0(VALU_DEP_4) | instskip(NEXT) | instid1(VALU_DEP_4)
	v_fma_f64 v[12:13], v[12:13], 2.0, -v[20:21]
	v_add_f64_e64 v[47:48], v[76:77], -v[47:48]
	s_delay_alu instid0(VALU_DEP_4)
	v_fma_f64 v[18:19], v[18:19], v[72:73], v[22:23]
	v_fma_f64 v[22:23], v[66:67], v[29:30], v[31:32]
	ds_load_b64 v[29:30], v15
	v_add_f64_e64 v[31:32], v[4:5], -v[35:36]
	v_add_f64_e64 v[35:36], v[78:79], -v[82:83]
	;; [unrolled: 1-line block ×3, first 2 shown]
	global_wb scope:SCOPE_SE
	s_wait_dscnt 0x0
	s_barrier_signal -1
	s_barrier_wait -1
	global_inv scope:SCOPE_SE
	v_add_f64_e64 v[16:17], v[29:30], -v[16:17]
	v_add_f64_e64 v[60:61], v[39:40], -v[60:61]
	;; [unrolled: 1-line block ×3, first 2 shown]
	v_fma_f64 v[68:69], v[76:77], 2.0, -v[47:48]
	v_add_f64_e64 v[18:19], v[43:44], -v[18:19]
	v_add_f64_e64 v[22:23], v[41:42], -v[22:23]
	v_fma_f64 v[4:5], v[4:5], 2.0, -v[31:32]
	v_fma_f64 v[66:67], v[78:79], 2.0, -v[35:36]
	v_add_f64_e64 v[64:65], v[31:32], -v[64:65]
	v_add_f64_e32 v[35:36], v[37:38], v[35:36]
	v_fma_f64 v[20:21], v[20:21], 2.0, -v[33:34]
	v_fma_f64 v[29:30], v[29:30], 2.0, -v[16:17]
	v_add_f64_e32 v[62:63], v[16:17], v[62:63]
	v_fma_f64 v[39:40], v[39:40], 2.0, -v[60:61]
	v_fma_f64 v[12:13], v[12:13], 2.0, -v[6:7]
	;; [unrolled: 1-line block ×4, first 2 shown]
	v_add_f64_e64 v[22:23], v[47:48], -v[22:23]
	v_add_f64_e32 v[60:61], v[18:19], v[60:61]
	v_add_f64_e64 v[66:67], v[4:5], -v[66:67]
	v_fma_f64 v[37:38], v[37:38], 2.0, -v[35:36]
	v_add_f64_e64 v[70:71], v[29:30], -v[10:11]
	v_fma_f64 v[10:11], v[31:32], 2.0, -v[64:65]
	;; [unrolled: 2-line block ×4, first 2 shown]
	v_fma_f64 v[74:75], v[18:19], 2.0, -v[60:61]
	v_fma_f64 v[4:5], v[4:5], 2.0, -v[66:67]
	;; [unrolled: 1-line block ×5, first 2 shown]
	v_and_b32_e32 v8, 0xffff, v14
	v_and_b32_e32 v9, 0xffff, v50
	v_lshlrev_b32_e32 v14, 4, v55
	s_delay_alu instid0(VALU_DEP_3) | instskip(NEXT) | instid1(VALU_DEP_3)
	v_lshl_add_u32 v50, v8, 3, 0
	v_lshl_add_u32 v55, v9, 3, 0
	ds_store_2addr_b64 v1, v[66:67], v[64:65] offset0:48 offset1:72
	ds_store_2addr_b64 v1, v[4:5], v[10:11] offset1:24
	ds_store_2addr_b64 v50, v[12:13], v[20:21] offset1:24
	ds_store_2addr_b64 v50, v[6:7], v[33:34] offset0:48 offset1:72
	ds_store_2addr_b64 v55, v[47:48], v[31:32] offset1:24
	ds_store_2addr_b64 v55, v[39:40], v[22:23] offset0:48 offset1:72
	v_fma_f64 v[43:44], v[43:44], 2.0, -v[41:42]
	global_wb scope:SCOPE_SE
	s_wait_dscnt 0x0
	s_barrier_signal -1
	s_barrier_wait -1
	global_inv scope:SCOPE_SE
	ds_load_2addr_stride64_b64 v[4:7], v28 offset1:16
	ds_load_2addr_stride64_b64 v[8:11], v28 offset0:20 offset1:24
	ds_load_2addr_stride64_b64 v[16:19], v28 offset0:36 offset1:40
	;; [unrolled: 1-line block ×3, first 2 shown]
	ds_load_b64 v[80:81], v15
	ds_load_b64 v[82:83], v27
	;; [unrolled: 1-line block ×3, first 2 shown]
	ds_load_b64 v[84:85], v28 offset:22528
	global_wb scope:SCOPE_SE
	s_wait_dscnt 0x0
	s_barrier_signal -1
	s_barrier_wait -1
	global_inv scope:SCOPE_SE
	ds_store_2addr_b64 v1, v[68:69], v[37:38] offset1:24
	ds_store_2addr_b64 v1, v[45:46], v[35:36] offset0:48 offset1:72
	ds_store_2addr_b64 v50, v[29:30], v[72:73] offset1:24
	ds_store_2addr_b64 v50, v[70:71], v[62:63] offset0:48 offset1:72
	;; [unrolled: 2-line block ×3, first 2 shown]
	global_wb scope:SCOPE_SE
	s_wait_dscnt 0x0
	s_barrier_signal -1
	s_barrier_wait -1
	global_inv scope:SCOPE_SE
	global_load_b128 v[29:32], v14, s[4:5] offset:1472
	v_lshrrev_b32_e32 v50, 22, v2
	v_mul_lo_u16 v2, 0x60, v58
	s_delay_alu instid0(VALU_DEP_2) | instskip(NEXT) | instid1(VALU_DEP_2)
	v_mul_lo_u16 v1, 0x60, v50
	v_sub_nc_u16 v88, v53, v2
	s_delay_alu instid0(VALU_DEP_2) | instskip(NEXT) | instid1(VALU_DEP_2)
	v_sub_nc_u16 v55, v49, v1
	v_mul_lo_u16 v2, v88, 3
	s_delay_alu instid0(VALU_DEP_2) | instskip(NEXT) | instid1(VALU_DEP_2)
	v_mul_lo_u16 v1, v55, 3
	v_and_b32_e32 v2, 0xffff, v2
	s_delay_alu instid0(VALU_DEP_2) | instskip(NEXT) | instid1(VALU_DEP_2)
	v_and_b32_e32 v1, 0xffff, v1
	v_lshlrev_b32_e32 v2, 4, v2
	s_delay_alu instid0(VALU_DEP_2)
	v_lshlrev_b32_e32 v1, 4, v1
	s_clause 0x7
	global_load_b128 v[33:36], v1, s[4:5] offset:1472
	global_load_b128 v[37:40], v14, s[4:5] offset:1440
	global_load_b128 v[41:44], v14, s[4:5] offset:1456
	global_load_b128 v[45:48], v2, s[4:5] offset:1440
	global_load_b128 v[60:63], v1, s[4:5] offset:1456
	global_load_b128 v[64:67], v2, s[4:5] offset:1456
	global_load_b128 v[68:71], v1, s[4:5] offset:1440
	global_load_b128 v[72:75], v2, s[4:5] offset:1472
	ds_load_2addr_stride64_b64 v[76:79], v28 offset0:36 offset1:40
	s_wait_loadcnt_dscnt 0x800
	v_mul_f64_e32 v[1:2], v[76:77], v[31:32]
	v_mul_f64_e32 v[31:32], v[16:17], v[31:32]
	s_wait_loadcnt 0x7
	v_mul_f64_e32 v[86:87], v[78:79], v[35:36]
	s_delay_alu instid0(VALU_DEP_3) | instskip(SKIP_1) | instid1(VALU_DEP_4)
	v_fma_f64 v[1:2], v[16:17], v[29:30], -v[1:2]
	v_mul_f64_e32 v[16:17], v[18:19], v[35:36]
	v_fma_f64 v[29:30], v[76:77], v[29:30], v[31:32]
	ds_load_b64 v[31:32], v26
	v_fma_f64 v[35:36], v[18:19], v[33:34], -v[86:87]
	ds_load_b64 v[76:77], v27
	ds_load_b64 v[86:87], v28 offset:22528
	v_fma_f64 v[33:34], v[78:79], v[33:34], v[16:17]
	s_wait_loadcnt_dscnt 0x602
	v_mul_f64_e32 v[78:79], v[31:32], v[39:40]
	ds_load_2addr_stride64_b64 v[16:19], v28 offset0:20 offset1:24
	v_mul_f64_e32 v[39:40], v[12:13], v[39:40]
	v_fma_f64 v[78:79], v[12:13], v[37:38], -v[78:79]
	s_wait_loadcnt_dscnt 0x500
	v_mul_f64_e32 v[12:13], v[18:19], v[43:44]
	s_delay_alu instid0(VALU_DEP_3)
	v_fma_f64 v[31:32], v[31:32], v[37:38], v[39:40]
	s_wait_loadcnt 0x4
	v_mul_f64_e32 v[39:40], v[16:17], v[47:48]
	v_mul_f64_e32 v[37:38], v[10:11], v[43:44]
	;; [unrolled: 1-line block ×3, first 2 shown]
	v_add_f64_e64 v[1:2], v[78:79], -v[1:2]
	v_fma_f64 v[47:48], v[10:11], v[41:42], -v[12:13]
	ds_load_2addr_stride64_b64 v[10:13], v28 offset0:28 offset1:32
	v_fma_f64 v[8:9], v[8:9], v[45:46], -v[39:40]
	v_fma_f64 v[37:38], v[18:19], v[41:42], v[37:38]
	s_wait_loadcnt 0x3
	v_mul_f64_e32 v[41:42], v[20:21], v[62:63]
	v_fma_f64 v[43:44], v[16:17], v[45:46], v[43:44]
	ds_load_2addr_stride64_b64 v[16:19], v28 offset1:16
	v_add_f64_e64 v[29:30], v[31:32], -v[29:30]
	s_wait_dscnt 0x1
	v_mul_f64_e32 v[39:40], v[10:11], v[62:63]
	s_wait_loadcnt 0x2
	v_mul_f64_e32 v[45:46], v[12:13], v[66:67]
	s_wait_loadcnt_dscnt 0x100
	v_mul_f64_e32 v[62:63], v[18:19], v[70:71]
	v_add_f64_e64 v[47:48], v[4:5], -v[47:48]
	v_add_f64_e64 v[37:38], v[16:17], -v[37:38]
	v_fma_f64 v[10:11], v[10:11], v[60:61], v[41:42]
	v_mul_f64_e32 v[41:42], v[6:7], v[70:71]
	v_fma_f64 v[31:32], v[31:32], 2.0, -v[29:30]
	v_fma_f64 v[20:21], v[20:21], v[60:61], -v[39:40]
	s_wait_loadcnt 0x0
	v_mul_f64_e32 v[39:40], v[86:87], v[74:75]
	v_fma_f64 v[45:46], v[22:23], v[64:65], -v[45:46]
	v_mul_f64_e32 v[22:23], v[22:23], v[66:67]
	v_mul_f64_e32 v[60:61], v[84:85], v[74:75]
	v_fma_f64 v[6:7], v[6:7], v[68:69], -v[62:63]
	v_fma_f64 v[3:4], v[4:5], 2.0, -v[47:48]
	v_add_f64_e64 v[29:30], v[47:48], -v[29:30]
	v_fma_f64 v[16:17], v[16:17], 2.0, -v[37:38]
	v_fma_f64 v[18:19], v[18:19], v[68:69], v[41:42]
	ds_load_b64 v[41:42], v15
	v_add_f64_e32 v[68:69], v[37:38], v[1:2]
	global_wb scope:SCOPE_SE
	s_wait_dscnt 0x0
	s_barrier_signal -1
	s_barrier_wait -1
	global_inv scope:SCOPE_SE
	v_add_f64_e64 v[20:21], v[80:81], -v[20:21]
	v_fma_f64 v[39:40], v[84:85], v[72:73], -v[39:40]
	v_add_f64_e64 v[45:46], v[82:83], -v[45:46]
	v_fma_f64 v[12:13], v[12:13], v[64:65], v[22:23]
	v_fma_f64 v[22:23], v[86:87], v[72:73], v[60:61]
	v_add_f64_e64 v[35:36], v[6:7], -v[35:36]
	v_add_f64_e64 v[60:61], v[41:42], -v[10:11]
	v_mul_u32_u24_e32 v72, 3, v0
	s_delay_alu instid0(VALU_DEP_1)
	v_lshlrev_b32_e32 v92, 4, v72
	v_add_f64_e64 v[31:32], v[16:17], -v[31:32]
	v_add_f64_e64 v[10:11], v[18:19], -v[33:34]
	v_fma_f64 v[33:34], v[78:79], 2.0, -v[1:2]
	v_fma_f64 v[1:2], v[47:48], 2.0, -v[29:30]
	;; [unrolled: 1-line block ×4, first 2 shown]
	v_add_f64_e64 v[39:40], v[8:9], -v[39:40]
	v_fma_f64 v[64:65], v[82:83], 2.0, -v[45:46]
	v_add_f64_e64 v[13:14], v[76:77], -v[12:13]
	v_add_f64_e64 v[22:23], v[43:44], -v[22:23]
	v_fma_f64 v[5:6], v[6:7], 2.0, -v[35:36]
	v_fma_f64 v[41:42], v[41:42], 2.0, -v[60:61]
	v_add_f64_e32 v[35:36], v[60:61], v[35:36]
	v_and_b32_e32 v12, 0xffff, v24
	v_mul_lo_u16 v24, 0x180, v50
	v_mul_lo_u16 v50, 0x180, v58
	s_delay_alu instid0(VALU_DEP_2) | instskip(NEXT) | instid1(VALU_DEP_2)
	v_or_b32_e32 v24, v24, v55
	v_or_b32_e32 v50, v50, v88
	s_delay_alu instid0(VALU_DEP_2) | instskip(NEXT) | instid1(VALU_DEP_2)
	v_and_b32_e32 v24, 0xffff, v24
	v_and_b32_e32 v50, 0xffff, v50
	v_fma_f64 v[18:19], v[18:19], 2.0, -v[10:11]
	v_add_f64_e64 v[33:34], v[3:4], -v[33:34]
	s_delay_alu instid0(VALU_DEP_4) | instskip(NEXT) | instid1(VALU_DEP_4)
	v_lshl_add_u32 v24, v24, 3, 0
	v_lshl_add_u32 v50, v50, 3, 0
	s_delay_alu instid0(VALU_DEP_2) | instskip(NEXT) | instid1(VALU_DEP_2)
	v_add_nc_u32_e32 v78, 0x400, v24
	v_add_nc_u32_e32 v79, 0x400, v50
	v_fma_f64 v[7:8], v[8:9], 2.0, -v[39:40]
	v_add_f64_e64 v[9:10], v[20:21], -v[10:11]
	v_fma_f64 v[66:67], v[76:77], 2.0, -v[13:14]
	v_fma_f64 v[43:44], v[43:44], 2.0, -v[22:23]
	v_add_f64_e64 v[5:6], v[62:63], -v[5:6]
	v_add_f64_e64 v[22:23], v[45:46], -v[22:23]
	v_add_f64_e32 v[39:40], v[13:14], v[39:40]
	v_fma_f64 v[60:61], v[60:61], 2.0, -v[35:36]
	v_add_nc_u32_e32 v11, 0xffffff80, v0
	s_wait_alu 0xf1ff
	s_delay_alu instid0(VALU_DEP_1) | instskip(NEXT) | instid1(VALU_DEP_1)
	v_cndmask_b32_e64 v58, v11, v49, s0
	v_mul_i32_i24_e32 v11, 3, v58
	v_add_f64_e64 v[70:71], v[41:42], -v[18:19]
	v_fma_f64 v[3:4], v[3:4], 2.0, -v[33:34]
	v_add_f64_e64 v[7:8], v[64:65], -v[7:8]
	v_fma_f64 v[18:19], v[20:21], 2.0, -v[9:10]
	;; [unrolled: 2-line block ×3, first 2 shown]
	v_fma_f64 v[45:46], v[45:46], 2.0, -v[22:23]
	v_fma_f64 v[13:14], v[13:14], 2.0, -v[39:40]
	v_mul_u32_u24_e32 v62, 0x180, v12
	v_mov_b32_e32 v12, 0
	s_delay_alu instid0(VALU_DEP_2) | instskip(NEXT) | instid1(VALU_DEP_2)
	v_or_b32_e32 v55, v62, v89
	v_lshlrev_b64_e32 v[62:63], 4, v[11:12]
	s_delay_alu instid0(VALU_DEP_2) | instskip(NEXT) | instid1(VALU_DEP_2)
	v_lshl_add_u32 v11, v55, 3, 0
	v_add_co_u32 v62, s0, s4, v62
	v_fma_f64 v[41:42], v[41:42], 2.0, -v[70:71]
	s_delay_alu instid0(VALU_DEP_3)
	v_add_nc_u32_e32 v55, 0x400, v11
	s_wait_alu 0xf1ff
	v_add_co_ci_u32_e64 v63, s0, s5, v63, s0
	v_cmp_lt_u32_e64 s0, 0x17f, v49
	v_fma_f64 v[47:48], v[64:65], 2.0, -v[7:8]
	v_fma_f64 v[64:65], v[16:17], 2.0, -v[31:32]
	ds_store_2addr_b64 v55, v[33:34], v[29:30] offset0:64 offset1:160
	ds_store_2addr_b64 v11, v[3:4], v[1:2] offset1:96
	ds_store_2addr_b64 v24, v[20:21], v[18:19] offset1:96
	ds_store_2addr_b64 v78, v[5:6], v[9:10] offset0:64 offset1:160
	ds_store_2addr_b64 v50, v[47:48], v[45:46] offset1:96
	ds_store_2addr_b64 v79, v[7:8], v[22:23] offset0:64 offset1:160
	v_fma_f64 v[66:67], v[66:67], 2.0, -v[43:44]
	global_wb scope:SCOPE_SE
	s_wait_dscnt 0x0
	s_barrier_signal -1
	s_barrier_wait -1
	global_inv scope:SCOPE_SE
	ds_load_2addr_stride64_b64 v[1:4], v28 offset1:16
	ds_load_2addr_stride64_b64 v[5:8], v28 offset0:20 offset1:24
	ds_load_2addr_stride64_b64 v[16:19], v28 offset0:36 offset1:40
	;; [unrolled: 1-line block ×3, first 2 shown]
	ds_load_b64 v[72:73], v15
	ds_load_b64 v[74:75], v27
	;; [unrolled: 1-line block ×3, first 2 shown]
	ds_load_b64 v[76:77], v28 offset:22528
	global_wb scope:SCOPE_SE
	s_wait_dscnt 0x0
	s_barrier_signal -1
	s_barrier_wait -1
	global_inv scope:SCOPE_SE
	ds_store_2addr_b64 v11, v[64:65], v[37:38] offset1:96
	ds_store_2addr_b64 v55, v[31:32], v[68:69] offset0:64 offset1:160
	ds_store_2addr_b64 v24, v[41:42], v[60:61] offset1:96
	ds_store_2addr_b64 v78, v[70:71], v[35:36] offset0:64 offset1:160
	;; [unrolled: 2-line block ×3, first 2 shown]
	global_wb scope:SCOPE_SE
	s_wait_dscnt 0x0
	s_barrier_signal -1
	s_barrier_wait -1
	global_inv scope:SCOPE_SE
	s_clause 0x5
	global_load_b128 v[29:32], v92, s[4:5] offset:6080
	global_load_b128 v[33:36], v[62:63], off offset:6080
	global_load_b128 v[37:40], v92, s[4:5] offset:6048
	global_load_b128 v[41:44], v92, s[4:5] offset:6064
	global_load_b128 v[45:48], v[62:63], off offset:6048
	global_load_b128 v[60:63], v[62:63], off offset:6064
	ds_load_2addr_stride64_b64 v[64:67], v28 offset0:36 offset1:40
	global_load_b128 v[68:71], v92, s[4:5] offset:12192
	ds_load_b64 v[80:81], v26
	ds_load_b64 v[82:83], v27
	ds_load_b64 v[84:85], v28 offset:22528
	s_wait_alu 0xf1ff
	v_cndmask_b32_e64 v11, 0, 0x600, s0
	v_lshl_add_u32 v50, v0, 3, 0
	s_delay_alu instid0(VALU_DEP_2) | instskip(NEXT) | instid1(VALU_DEP_1)
	v_or_b32_e32 v0, v11, v58
	v_lshl_add_u32 v55, v0, 3, 0
	s_wait_loadcnt_dscnt 0x603
	v_mul_f64_e32 v[13:14], v[64:65], v[31:32]
	v_mul_f64_e32 v[31:32], v[16:17], v[31:32]
	s_wait_loadcnt 0x5
	v_mul_f64_e32 v[78:79], v[66:67], v[35:36]
	v_mul_f64_e32 v[35:36], v[18:19], v[35:36]
	s_wait_loadcnt_dscnt 0x402
	v_mul_f64_e32 v[86:87], v[80:81], v[39:40]
	v_mul_f64_e32 v[39:40], v[9:10], v[39:40]
	v_fma_f64 v[13:14], v[16:17], v[29:30], -v[13:14]
	v_fma_f64 v[64:65], v[64:65], v[29:30], v[31:32]
	ds_load_2addr_stride64_b64 v[29:32], v28 offset0:20 offset1:24
	v_fma_f64 v[78:79], v[18:19], v[33:34], -v[78:79]
	ds_load_2addr_stride64_b64 v[16:19], v28 offset1:16
	v_fma_f64 v[66:67], v[66:67], v[33:34], v[35:36]
	ds_load_2addr_stride64_b64 v[33:36], v28 offset0:28 offset1:32
	v_fma_f64 v[86:87], v[9:10], v[37:38], -v[86:87]
	v_fma_f64 v[37:38], v[80:81], v[37:38], v[39:40]
	s_wait_loadcnt_dscnt 0x302
	v_mul_f64_e32 v[88:89], v[31:32], v[43:44]
	v_mul_f64_e32 v[43:44], v[7:8], v[43:44]
	s_wait_loadcnt_dscnt 0x201
	v_mul_f64_e32 v[90:91], v[18:19], v[47:48]
	v_mul_f64_e32 v[47:48], v[3:4], v[47:48]
	v_add_f64_e64 v[13:14], v[86:87], -v[13:14]
	v_fma_f64 v[39:40], v[7:8], v[41:42], -v[88:89]
	v_fma_f64 v[31:32], v[31:32], v[41:42], v[43:44]
	global_load_b128 v[7:10], v92, s[4:5] offset:12208
	s_wait_loadcnt_dscnt 0x200
	v_mul_f64_e32 v[41:42], v[33:34], v[62:63]
	v_fma_f64 v[43:44], v[18:19], v[45:46], v[47:48]
	v_mul_f64_e32 v[18:19], v[20:21], v[62:63]
	v_fma_f64 v[3:4], v[3:4], v[45:46], -v[90:91]
	s_wait_loadcnt 0x1
	v_mul_f64_e32 v[45:46], v[29:30], v[70:71]
	v_add_f64_e64 v[31:32], v[16:17], -v[31:32]
	v_fma_f64 v[41:42], v[20:21], v[60:61], -v[41:42]
	v_fma_f64 v[33:34], v[33:34], v[60:61], v[18:19]
	global_load_b128 v[18:21], v92, s[4:5] offset:12224
	v_fma_f64 v[45:46], v[5:6], v[68:69], -v[45:46]
	v_mul_f64_e32 v[5:6], v[5:6], v[70:71]
	v_fma_f64 v[60:61], v[86:87], 2.0, -v[13:14]
	v_fma_f64 v[16:17], v[16:17], 2.0, -v[31:32]
	s_delay_alu instid0(VALU_DEP_3) | instskip(SKIP_2) | instid1(VALU_DEP_2)
	v_fma_f64 v[5:6], v[29:30], v[68:69], v[5:6]
	v_add_f64_e64 v[29:30], v[3:4], -v[78:79]
	v_add_f64_e32 v[68:69], v[31:32], v[13:14]
	v_fma_f64 v[3:4], v[3:4], 2.0, -v[29:30]
	s_delay_alu instid0(VALU_DEP_2) | instskip(SKIP_3) | instid1(VALU_DEP_2)
	v_fma_f64 v[31:32], v[31:32], 2.0, -v[68:69]
	s_wait_loadcnt 0x1
	v_mul_f64_e32 v[47:48], v[35:36], v[9:10]
	v_mul_f64_e32 v[9:10], v[22:23], v[9:10]
	v_fma_f64 v[47:48], v[22:23], v[7:8], -v[47:48]
	s_delay_alu instid0(VALU_DEP_2) | instskip(SKIP_3) | instid1(VALU_DEP_4)
	v_fma_f64 v[7:8], v[35:36], v[7:8], v[9:10]
	s_wait_loadcnt 0x0
	v_mul_f64_e32 v[22:23], v[84:85], v[20:21]
	v_mul_f64_e32 v[20:21], v[76:77], v[20:21]
	v_add_f64_e64 v[35:36], v[74:75], -v[47:48]
	v_add_f64_e64 v[47:48], v[43:44], -v[66:67]
	v_add_f64_e64 v[7:8], v[82:83], -v[7:8]
	v_fma_f64 v[22:23], v[76:77], v[18:19], -v[22:23]
	v_fma_f64 v[9:10], v[84:85], v[18:19], v[20:21]
	v_add_f64_e64 v[18:19], v[1:2], -v[39:40]
	v_add_f64_e64 v[20:21], v[72:73], -v[41:42]
	ds_load_b64 v[39:40], v15
	v_add_f64_e64 v[41:42], v[37:38], -v[64:65]
	global_wb scope:SCOPE_SE
	s_wait_dscnt 0x0
	s_barrier_signal -1
	s_barrier_wait -1
	global_inv scope:SCOPE_SE
	v_add_f64_e64 v[33:34], v[39:40], -v[33:34]
	v_fma_f64 v[64:65], v[74:75], 2.0, -v[35:36]
	v_fma_f64 v[43:44], v[43:44], 2.0, -v[47:48]
	v_fma_f64 v[66:67], v[82:83], 2.0, -v[7:8]
	v_add_f64_e64 v[22:23], v[45:46], -v[22:23]
	v_add_f64_e64 v[9:10], v[5:6], -v[9:10]
	v_fma_f64 v[1:2], v[1:2], 2.0, -v[18:19]
	v_fma_f64 v[62:63], v[72:73], 2.0, -v[20:21]
	v_add_f64_e64 v[47:48], v[20:21], -v[47:48]
	v_fma_f64 v[37:38], v[37:38], 2.0, -v[41:42]
	v_add_f64_e64 v[41:42], v[18:19], -v[41:42]
	v_fma_f64 v[39:40], v[39:40], 2.0, -v[33:34]
	v_add_f64_e32 v[70:71], v[33:34], v[29:30]
	v_lshl_add_u32 v29, v57, 3, 0
	v_lshl_add_u32 v30, v56, 3, 0
	v_fma_f64 v[45:46], v[45:46], 2.0, -v[22:23]
	v_fma_f64 v[5:6], v[5:6], 2.0, -v[9:10]
	v_add_f64_e64 v[60:61], v[1:2], -v[60:61]
	v_add_f64_e64 v[3:4], v[62:63], -v[3:4]
	;; [unrolled: 1-line block ×4, first 2 shown]
	v_add_f64_e32 v[74:75], v[7:8], v[22:23]
	v_fma_f64 v[13:14], v[20:21], 2.0, -v[47:48]
	v_add_f64_e64 v[43:44], v[39:40], -v[43:44]
	v_fma_f64 v[33:34], v[33:34], 2.0, -v[70:71]
	v_add_f64_e64 v[45:46], v[64:65], -v[45:46]
	v_add_f64_e64 v[72:73], v[66:67], -v[5:6]
	v_fma_f64 v[5:6], v[18:19], 2.0, -v[41:42]
	v_fma_f64 v[1:2], v[1:2], 2.0, -v[60:61]
	v_fma_f64 v[18:19], v[62:63], 2.0, -v[3:4]
	v_fma_f64 v[22:23], v[35:36], 2.0, -v[9:10]
	v_fma_f64 v[35:36], v[16:17], 2.0, -v[37:38]
	v_fma_f64 v[39:40], v[39:40], 2.0, -v[43:44]
	v_fma_f64 v[20:21], v[64:65], 2.0, -v[45:46]
	v_fma_f64 v[62:63], v[66:67], 2.0, -v[72:73]
	v_fma_f64 v[64:65], v[7:8], 2.0, -v[74:75]
	ds_store_2addr_stride64_b64 v28, v[60:61], v[41:42] offset0:12 offset1:18
	ds_store_2addr_stride64_b64 v28, v[1:2], v[5:6] offset1:6
	ds_store_2addr_stride64_b64 v55, v[18:19], v[13:14] offset1:6
	ds_store_2addr_stride64_b64 v55, v[3:4], v[47:48] offset0:12 offset1:18
	ds_store_b64 v28, v[20:21] offset:13312
	ds_store_2addr_stride64_b64 v50, v[22:23], v[45:46] offset0:32 offset1:38
	ds_store_b64 v50, v[9:10] offset:22528
	global_wb scope:SCOPE_SE
	s_wait_dscnt 0x0
	s_barrier_signal -1
	s_barrier_wait -1
	global_inv scope:SCOPE_SE
	ds_load_2addr_stride64_b64 v[0:3], v28 offset1:24
	ds_load_2addr_stride64_b64 v[4:7], v28 offset0:28 offset1:32
	ds_load_2addr_stride64_b64 v[8:11], v28 offset0:36 offset1:40
	ds_load_b64 v[13:14], v29
	ds_load_b64 v[19:20], v15
	;; [unrolled: 1-line block ×5, first 2 shown]
	ds_load_b64 v[23:24], v28 offset:22528
	global_wb scope:SCOPE_SE
	s_wait_dscnt 0x0
	s_barrier_signal -1
	s_barrier_wait -1
	global_inv scope:SCOPE_SE
	ds_store_2addr_stride64_b64 v28, v[35:36], v[31:32] offset1:6
	ds_store_2addr_stride64_b64 v28, v[37:38], v[68:69] offset0:12 offset1:18
	ds_store_2addr_stride64_b64 v55, v[39:40], v[33:34] offset1:6
	ds_store_2addr_stride64_b64 v55, v[43:44], v[70:71] offset0:12 offset1:18
	ds_store_b64 v28, v[62:63] offset:13312
	ds_store_2addr_stride64_b64 v50, v[64:65], v[72:73] offset0:32 offset1:38
	ds_store_b64 v50, v[74:75] offset:22528
	global_wb scope:SCOPE_SE
	s_wait_dscnt 0x0
	s_barrier_signal -1
	s_barrier_wait -1
	global_inv scope:SCOPE_SE
	s_and_saveexec_b32 s0, vcc_lo
	s_cbranch_execz .LBB0_15
; %bb.14:
	v_dual_mov_b32 v58, v12 :: v_dual_mov_b32 v55, v12
	v_mov_b32_e32 v50, v12
	s_delay_alu instid0(VALU_DEP_2) | instskip(SKIP_1) | instid1(VALU_DEP_4)
	v_lshlrev_b64_e32 v[31:32], 4, v[57:58]
	v_mov_b32_e32 v57, v12
	v_lshlrev_b64_e32 v[33:34], 4, v[54:55]
	v_mov_b32_e32 v54, v12
	v_mul_i32_i24_e32 v12, 0xffffffd8, v49
	v_lshlrev_b64_e32 v[39:40], 4, v[49:50]
	v_add_co_u32 v31, vcc_lo, s4, v31
	s_wait_alu 0xfffd
	v_add_co_ci_u32_e32 v32, vcc_lo, s5, v32, vcc_lo
	v_add_co_u32 v35, vcc_lo, s4, v33
	v_lshlrev_b64_e32 v[41:42], 4, v[53:54]
	s_wait_alu 0xfffd
	v_add_co_ci_u32_e32 v36, vcc_lo, s5, v34, vcc_lo
	v_lshlrev_b64_e32 v[47:48], 4, v[56:57]
	v_add_co_u32 v39, vcc_lo, s4, v39
	s_wait_alu 0xfffd
	v_add_co_ci_u32_e32 v40, vcc_lo, s5, v40, vcc_lo
	v_add_co_u32 v53, vcc_lo, s4, v41
	s_wait_alu 0xfffd
	v_add_co_ci_u32_e32 v54, vcc_lo, s5, v42, vcc_lo
	v_add_co_u32 v47, vcc_lo, s4, v47
	s_clause 0x3
	global_load_b128 v[31:34], v[31:32], off offset:24480
	global_load_b128 v[35:38], v[35:36], off offset:24480
	;; [unrolled: 1-line block ×3, first 2 shown]
	global_load_b128 v[43:46], v59, s[4:5] offset:24480
	s_wait_alu 0xfffd
	v_add_co_ci_u32_e32 v48, vcc_lo, s5, v48, vcc_lo
	s_clause 0x1
	global_load_b128 v[53:56], v[53:54], off offset:24480
	global_load_b128 v[60:63], v[47:48], off offset:24480
	ds_load_2addr_stride64_b64 v[64:67], v28 offset0:36 offset1:40
	ds_load_2addr_stride64_b64 v[68:71], v28 offset0:28 offset1:32
	ds_load_2addr_stride64_b64 v[72:75], v28 offset1:24
	ds_load_b64 v[47:48], v28 offset:22528
	ds_load_b64 v[57:58], v26
	ds_load_b64 v[76:77], v27
	s_wait_loadcnt_dscnt 0x505
	v_mul_f64_e32 v[26:27], v[31:32], v[66:67]
	s_wait_loadcnt 0x4
	v_mul_f64_e32 v[78:79], v[35:36], v[64:65]
	s_wait_loadcnt_dscnt 0x304
	v_mul_f64_e32 v[80:81], v[39:40], v[68:69]
	s_wait_loadcnt_dscnt 0x203
	v_mul_f64_e32 v[82:83], v[43:44], v[74:75]
	v_mul_f64_e32 v[74:75], v[45:46], v[74:75]
	;; [unrolled: 1-line block ×4, first 2 shown]
	s_wait_loadcnt 0x1
	v_mul_f64_e32 v[84:85], v[53:54], v[70:71]
	v_mul_f64_e32 v[70:71], v[55:56], v[70:71]
	;; [unrolled: 1-line block ×3, first 2 shown]
	s_wait_loadcnt_dscnt 0x2
	v_mul_f64_e32 v[86:87], v[60:61], v[47:48]
	v_mul_f64_e32 v[47:48], v[62:63], v[47:48]
	v_fma_f64 v[26:27], v[10:11], v[33:34], v[26:27]
	v_fma_f64 v[33:34], v[8:9], v[37:38], v[78:79]
	;; [unrolled: 1-line block ×4, first 2 shown]
	v_fma_f64 v[2:3], v[2:3], v[43:44], -v[74:75]
	v_fma_f64 v[39:40], v[4:5], v[39:40], -v[68:69]
	;; [unrolled: 1-line block ×3, first 2 shown]
	v_fma_f64 v[43:44], v[6:7], v[55:56], v[84:85]
	v_fma_f64 v[45:46], v[6:7], v[53:54], -v[70:71]
	v_fma_f64 v[10:11], v[10:11], v[31:32], -v[66:67]
	v_fma_f64 v[49:50], v[23:24], v[62:63], v[86:87]
	v_fma_f64 v[47:48], v[23:24], v[60:61], -v[47:48]
	v_add_nc_u32_e32 v4, v25, v12
	ds_load_b64 v[53:54], v29
	ds_load_b64 v[55:56], v4
	;; [unrolled: 1-line block ×3, first 2 shown]
	s_wait_dscnt 0x2
	v_add_f64_e64 v[4:5], v[53:54], -v[26:27]
	v_add_f64_e64 v[8:9], v[57:58], -v[33:34]
	s_wait_dscnt 0x1
	v_add_f64_e64 v[25:26], v[55:56], -v[37:38]
	v_add_f64_e64 v[29:30], v[72:73], -v[41:42]
	;; [unrolled: 1-line block ×8, first 2 shown]
	s_wait_dscnt 0x0
	v_add_f64_e64 v[37:38], v[60:61], -v[49:50]
	v_add_f64_e64 v[35:36], v[15:16], -v[47:48]
	v_fma_f64 v[41:42], v[53:54], 2.0, -v[4:5]
	v_fma_f64 v[45:46], v[57:58], 2.0, -v[8:9]
	;; [unrolled: 1-line block ×12, first 2 shown]
	v_add_co_u32 v16, vcc_lo, s8, v51
	s_wait_alu 0xfffd
	v_add_co_ci_u32_e32 v52, vcc_lo, s9, v52, vcc_lo
	v_or_b32_e32 v14, 0x7000, v59
	s_delay_alu instid0(VALU_DEP_3)
	v_add_co_u32 v0, vcc_lo, v16, v59
	v_or_b32_e32 v21, 0x3000, v59
	s_wait_alu 0xfffd
	v_add_co_ci_u32_e32 v1, vcc_lo, 0, v52, vcc_lo
	v_add_co_u32 v14, vcc_lo, v16, v14
	v_or_b32_e32 v51, 0xb000, v59
	s_wait_alu 0xfffd
	v_add_co_ci_u32_e32 v15, vcc_lo, 0, v52, vcc_lo
	v_add_co_u32 v21, vcc_lo, v16, v21
	s_wait_alu 0xfffd
	v_add_co_ci_u32_e32 v22, vcc_lo, 0, v52, vcc_lo
	v_add_co_u32 v51, vcc_lo, v16, v51
	s_wait_alu 0xfffd
	v_add_co_ci_u32_e32 v52, vcc_lo, 0, v52, vcc_lo
	s_clause 0xb
	global_store_b128 v[0:1], v[31:34], off offset:32768
	global_store_b128 v[0:1], v[2:5], off offset:40960
	global_store_b128 v[0:1], v[53:56], off
	global_store_b128 v[0:1], v[47:50], off offset:4096
	global_store_b128 v[14:15], v[23:26], off
	global_store_b128 v[21:22], v[43:46], off
	global_store_b128 v[0:1], v[17:20], off offset:8192
	global_store_b128 v[0:1], v[39:42], off offset:16384
	;; [unrolled: 1-line block ×5, first 2 shown]
	global_store_b128 v[51:52], v[35:38], off
.LBB0_15:
	s_nop 0
	s_sendmsg sendmsg(MSG_DEALLOC_VGPRS)
	s_endpgm
	.section	.rodata,"a",@progbits
	.p2align	6, 0x0
	.amdhsa_kernel fft_rtc_fwd_len3072_factors_6_4_4_4_4_2_wgs_256_tpt_256_halfLds_dp_ip_CI_unitstride_sbrr_dirReg
		.amdhsa_group_segment_fixed_size 0
		.amdhsa_private_segment_fixed_size 0
		.amdhsa_kernarg_size 88
		.amdhsa_user_sgpr_count 2
		.amdhsa_user_sgpr_dispatch_ptr 0
		.amdhsa_user_sgpr_queue_ptr 0
		.amdhsa_user_sgpr_kernarg_segment_ptr 1
		.amdhsa_user_sgpr_dispatch_id 0
		.amdhsa_user_sgpr_private_segment_size 0
		.amdhsa_wavefront_size32 1
		.amdhsa_uses_dynamic_stack 0
		.amdhsa_enable_private_segment 0
		.amdhsa_system_sgpr_workgroup_id_x 1
		.amdhsa_system_sgpr_workgroup_id_y 0
		.amdhsa_system_sgpr_workgroup_id_z 0
		.amdhsa_system_sgpr_workgroup_info 0
		.amdhsa_system_vgpr_workitem_id 0
		.amdhsa_next_free_vgpr 93
		.amdhsa_next_free_sgpr 32
		.amdhsa_reserve_vcc 1
		.amdhsa_float_round_mode_32 0
		.amdhsa_float_round_mode_16_64 0
		.amdhsa_float_denorm_mode_32 3
		.amdhsa_float_denorm_mode_16_64 3
		.amdhsa_fp16_overflow 0
		.amdhsa_workgroup_processor_mode 1
		.amdhsa_memory_ordered 1
		.amdhsa_forward_progress 0
		.amdhsa_round_robin_scheduling 0
		.amdhsa_exception_fp_ieee_invalid_op 0
		.amdhsa_exception_fp_denorm_src 0
		.amdhsa_exception_fp_ieee_div_zero 0
		.amdhsa_exception_fp_ieee_overflow 0
		.amdhsa_exception_fp_ieee_underflow 0
		.amdhsa_exception_fp_ieee_inexact 0
		.amdhsa_exception_int_div_zero 0
	.end_amdhsa_kernel
	.text
.Lfunc_end0:
	.size	fft_rtc_fwd_len3072_factors_6_4_4_4_4_2_wgs_256_tpt_256_halfLds_dp_ip_CI_unitstride_sbrr_dirReg, .Lfunc_end0-fft_rtc_fwd_len3072_factors_6_4_4_4_4_2_wgs_256_tpt_256_halfLds_dp_ip_CI_unitstride_sbrr_dirReg
                                        ; -- End function
	.section	.AMDGPU.csdata,"",@progbits
; Kernel info:
; codeLenInByte = 9040
; NumSgprs: 34
; NumVgprs: 93
; ScratchSize: 0
; MemoryBound: 1
; FloatMode: 240
; IeeeMode: 1
; LDSByteSize: 0 bytes/workgroup (compile time only)
; SGPRBlocks: 4
; VGPRBlocks: 11
; NumSGPRsForWavesPerEU: 34
; NumVGPRsForWavesPerEU: 93
; Occupancy: 16
; WaveLimiterHint : 1
; COMPUTE_PGM_RSRC2:SCRATCH_EN: 0
; COMPUTE_PGM_RSRC2:USER_SGPR: 2
; COMPUTE_PGM_RSRC2:TRAP_HANDLER: 0
; COMPUTE_PGM_RSRC2:TGID_X_EN: 1
; COMPUTE_PGM_RSRC2:TGID_Y_EN: 0
; COMPUTE_PGM_RSRC2:TGID_Z_EN: 0
; COMPUTE_PGM_RSRC2:TIDIG_COMP_CNT: 0
	.text
	.p2alignl 7, 3214868480
	.fill 96, 4, 3214868480
	.type	__hip_cuid_5c4abbc92f740a62,@object ; @__hip_cuid_5c4abbc92f740a62
	.section	.bss,"aw",@nobits
	.globl	__hip_cuid_5c4abbc92f740a62
__hip_cuid_5c4abbc92f740a62:
	.byte	0                               ; 0x0
	.size	__hip_cuid_5c4abbc92f740a62, 1

	.ident	"AMD clang version 19.0.0git (https://github.com/RadeonOpenCompute/llvm-project roc-6.4.0 25133 c7fe45cf4b819c5991fe208aaa96edf142730f1d)"
	.section	".note.GNU-stack","",@progbits
	.addrsig
	.addrsig_sym __hip_cuid_5c4abbc92f740a62
	.amdgpu_metadata
---
amdhsa.kernels:
  - .args:
      - .actual_access:  read_only
        .address_space:  global
        .offset:         0
        .size:           8
        .value_kind:     global_buffer
      - .offset:         8
        .size:           8
        .value_kind:     by_value
      - .actual_access:  read_only
        .address_space:  global
        .offset:         16
        .size:           8
        .value_kind:     global_buffer
      - .actual_access:  read_only
        .address_space:  global
        .offset:         24
        .size:           8
        .value_kind:     global_buffer
      - .offset:         32
        .size:           8
        .value_kind:     by_value
      - .actual_access:  read_only
        .address_space:  global
        .offset:         40
        .size:           8
        .value_kind:     global_buffer
      - .actual_access:  read_only
        .address_space:  global
        .offset:         48
        .size:           8
        .value_kind:     global_buffer
      - .offset:         56
        .size:           4
        .value_kind:     by_value
      - .actual_access:  read_only
        .address_space:  global
        .offset:         64
        .size:           8
        .value_kind:     global_buffer
      - .actual_access:  read_only
        .address_space:  global
        .offset:         72
        .size:           8
        .value_kind:     global_buffer
      - .address_space:  global
        .offset:         80
        .size:           8
        .value_kind:     global_buffer
    .group_segment_fixed_size: 0
    .kernarg_segment_align: 8
    .kernarg_segment_size: 88
    .language:       OpenCL C
    .language_version:
      - 2
      - 0
    .max_flat_workgroup_size: 256
    .name:           fft_rtc_fwd_len3072_factors_6_4_4_4_4_2_wgs_256_tpt_256_halfLds_dp_ip_CI_unitstride_sbrr_dirReg
    .private_segment_fixed_size: 0
    .sgpr_count:     34
    .sgpr_spill_count: 0
    .symbol:         fft_rtc_fwd_len3072_factors_6_4_4_4_4_2_wgs_256_tpt_256_halfLds_dp_ip_CI_unitstride_sbrr_dirReg.kd
    .uniform_work_group_size: 1
    .uses_dynamic_stack: false
    .vgpr_count:     93
    .vgpr_spill_count: 0
    .wavefront_size: 32
    .workgroup_processor_mode: 1
amdhsa.target:   amdgcn-amd-amdhsa--gfx1201
amdhsa.version:
  - 1
  - 2
...

	.end_amdgpu_metadata
